;; amdgpu-corpus repo=ROCm/rocFFT kind=compiled arch=gfx1030 opt=O3
	.text
	.amdgcn_target "amdgcn-amd-amdhsa--gfx1030"
	.amdhsa_code_object_version 6
	.protected	fft_rtc_fwd_len504_factors_7_9_4_2_wgs_63_tpt_63_half_op_CI_CI_unitstride_sbrr_R2C_dirReg ; -- Begin function fft_rtc_fwd_len504_factors_7_9_4_2_wgs_63_tpt_63_half_op_CI_CI_unitstride_sbrr_R2C_dirReg
	.globl	fft_rtc_fwd_len504_factors_7_9_4_2_wgs_63_tpt_63_half_op_CI_CI_unitstride_sbrr_R2C_dirReg
	.p2align	8
	.type	fft_rtc_fwd_len504_factors_7_9_4_2_wgs_63_tpt_63_half_op_CI_CI_unitstride_sbrr_R2C_dirReg,@function
fft_rtc_fwd_len504_factors_7_9_4_2_wgs_63_tpt_63_half_op_CI_CI_unitstride_sbrr_R2C_dirReg: ; @fft_rtc_fwd_len504_factors_7_9_4_2_wgs_63_tpt_63_half_op_CI_CI_unitstride_sbrr_R2C_dirReg
; %bb.0:
	s_clause 0x2
	s_load_dwordx4 s[12:15], s[4:5], 0x0
	s_load_dwordx4 s[8:11], s[4:5], 0x58
	;; [unrolled: 1-line block ×3, first 2 shown]
	v_mul_u32_u24_e32 v1, 0x411, v0
	v_mov_b32_e32 v5, 0
	v_mov_b32_e32 v8, 0
	;; [unrolled: 1-line block ×3, first 2 shown]
	v_add_nc_u32_sdwa v10, s6, v1 dst_sel:DWORD dst_unused:UNUSED_PAD src0_sel:DWORD src1_sel:WORD_1
	v_mov_b32_e32 v11, v5
	s_waitcnt lgkmcnt(0)
	v_cmp_lt_u64_e64 s0, s[14:15], 2
	s_and_b32 vcc_lo, exec_lo, s0
	s_cbranch_vccnz .LBB0_8
; %bb.1:
	s_load_dwordx2 s[0:1], s[4:5], 0x10
	v_mov_b32_e32 v8, 0
	v_mov_b32_e32 v9, 0
	s_add_u32 s2, s18, 8
	s_addc_u32 s3, s19, 0
	v_mov_b32_e32 v1, v8
	s_add_u32 s6, s16, 8
	v_mov_b32_e32 v2, v9
	s_addc_u32 s7, s17, 0
	s_mov_b64 s[22:23], 1
	s_waitcnt lgkmcnt(0)
	s_add_u32 s20, s0, 8
	s_addc_u32 s21, s1, 0
.LBB0_2:                                ; =>This Inner Loop Header: Depth=1
	s_load_dwordx2 s[24:25], s[20:21], 0x0
                                        ; implicit-def: $vgpr3_vgpr4
	s_mov_b32 s0, exec_lo
	s_waitcnt lgkmcnt(0)
	v_or_b32_e32 v6, s25, v11
	v_cmpx_ne_u64_e32 0, v[5:6]
	s_xor_b32 s1, exec_lo, s0
	s_cbranch_execz .LBB0_4
; %bb.3:                                ;   in Loop: Header=BB0_2 Depth=1
	v_cvt_f32_u32_e32 v3, s24
	v_cvt_f32_u32_e32 v4, s25
	s_sub_u32 s0, 0, s24
	s_subb_u32 s26, 0, s25
	v_fmac_f32_e32 v3, 0x4f800000, v4
	v_rcp_f32_e32 v3, v3
	v_mul_f32_e32 v3, 0x5f7ffffc, v3
	v_mul_f32_e32 v4, 0x2f800000, v3
	v_trunc_f32_e32 v4, v4
	v_fmac_f32_e32 v3, 0xcf800000, v4
	v_cvt_u32_f32_e32 v4, v4
	v_cvt_u32_f32_e32 v3, v3
	v_mul_lo_u32 v6, s0, v4
	v_mul_hi_u32 v7, s0, v3
	v_mul_lo_u32 v12, s26, v3
	v_add_nc_u32_e32 v6, v7, v6
	v_mul_lo_u32 v7, s0, v3
	v_add_nc_u32_e32 v6, v6, v12
	v_mul_hi_u32 v12, v3, v7
	v_mul_lo_u32 v13, v3, v6
	v_mul_hi_u32 v14, v3, v6
	v_mul_hi_u32 v15, v4, v7
	v_mul_lo_u32 v7, v4, v7
	v_mul_hi_u32 v16, v4, v6
	v_mul_lo_u32 v6, v4, v6
	v_add_co_u32 v12, vcc_lo, v12, v13
	v_add_co_ci_u32_e32 v13, vcc_lo, 0, v14, vcc_lo
	v_add_co_u32 v7, vcc_lo, v12, v7
	v_add_co_ci_u32_e32 v7, vcc_lo, v13, v15, vcc_lo
	v_add_co_ci_u32_e32 v12, vcc_lo, 0, v16, vcc_lo
	v_add_co_u32 v6, vcc_lo, v7, v6
	v_add_co_ci_u32_e32 v7, vcc_lo, 0, v12, vcc_lo
	v_add_co_u32 v3, vcc_lo, v3, v6
	v_add_co_ci_u32_e32 v4, vcc_lo, v4, v7, vcc_lo
	v_mul_hi_u32 v6, s0, v3
	v_mul_lo_u32 v12, s26, v3
	v_mul_lo_u32 v7, s0, v4
	v_add_nc_u32_e32 v6, v6, v7
	v_mul_lo_u32 v7, s0, v3
	v_add_nc_u32_e32 v6, v6, v12
	v_mul_hi_u32 v12, v3, v7
	v_mul_lo_u32 v13, v3, v6
	v_mul_hi_u32 v14, v3, v6
	v_mul_hi_u32 v15, v4, v7
	v_mul_lo_u32 v7, v4, v7
	v_mul_hi_u32 v16, v4, v6
	v_mul_lo_u32 v6, v4, v6
	v_add_co_u32 v12, vcc_lo, v12, v13
	v_add_co_ci_u32_e32 v13, vcc_lo, 0, v14, vcc_lo
	v_add_co_u32 v7, vcc_lo, v12, v7
	v_add_co_ci_u32_e32 v7, vcc_lo, v13, v15, vcc_lo
	v_add_co_ci_u32_e32 v12, vcc_lo, 0, v16, vcc_lo
	v_add_co_u32 v6, vcc_lo, v7, v6
	v_add_co_ci_u32_e32 v7, vcc_lo, 0, v12, vcc_lo
	v_add_co_u32 v6, vcc_lo, v3, v6
	v_add_co_ci_u32_e32 v12, vcc_lo, v4, v7, vcc_lo
	v_mul_hi_u32 v14, v10, v6
	v_mad_u64_u32 v[6:7], null, v11, v6, 0
	v_mad_u64_u32 v[3:4], null, v10, v12, 0
	;; [unrolled: 1-line block ×3, first 2 shown]
	v_add_co_u32 v3, vcc_lo, v14, v3
	v_add_co_ci_u32_e32 v4, vcc_lo, 0, v4, vcc_lo
	v_add_co_u32 v3, vcc_lo, v3, v6
	v_add_co_ci_u32_e32 v3, vcc_lo, v4, v7, vcc_lo
	v_add_co_ci_u32_e32 v4, vcc_lo, 0, v13, vcc_lo
	v_add_co_u32 v6, vcc_lo, v3, v12
	v_add_co_ci_u32_e32 v7, vcc_lo, 0, v4, vcc_lo
	v_mul_lo_u32 v12, s25, v6
	v_mad_u64_u32 v[3:4], null, s24, v6, 0
	v_mul_lo_u32 v13, s24, v7
	v_sub_co_u32 v3, vcc_lo, v10, v3
	v_add3_u32 v4, v4, v13, v12
	v_sub_nc_u32_e32 v12, v11, v4
	v_subrev_co_ci_u32_e64 v12, s0, s25, v12, vcc_lo
	v_add_co_u32 v13, s0, v6, 2
	v_add_co_ci_u32_e64 v14, s0, 0, v7, s0
	v_sub_co_u32 v15, s0, v3, s24
	v_sub_co_ci_u32_e32 v4, vcc_lo, v11, v4, vcc_lo
	v_subrev_co_ci_u32_e64 v12, s0, 0, v12, s0
	v_cmp_le_u32_e32 vcc_lo, s24, v15
	v_cmp_eq_u32_e64 s0, s25, v4
	v_cndmask_b32_e64 v15, 0, -1, vcc_lo
	v_cmp_le_u32_e32 vcc_lo, s25, v12
	v_cndmask_b32_e64 v16, 0, -1, vcc_lo
	v_cmp_le_u32_e32 vcc_lo, s24, v3
	;; [unrolled: 2-line block ×3, first 2 shown]
	v_cndmask_b32_e64 v17, 0, -1, vcc_lo
	v_cmp_eq_u32_e32 vcc_lo, s25, v12
	v_cndmask_b32_e64 v3, v17, v3, s0
	v_cndmask_b32_e32 v12, v16, v15, vcc_lo
	v_add_co_u32 v15, vcc_lo, v6, 1
	v_add_co_ci_u32_e32 v16, vcc_lo, 0, v7, vcc_lo
	v_cmp_ne_u32_e32 vcc_lo, 0, v12
	v_cndmask_b32_e32 v4, v16, v14, vcc_lo
	v_cndmask_b32_e32 v12, v15, v13, vcc_lo
	v_cmp_ne_u32_e32 vcc_lo, 0, v3
	v_cndmask_b32_e32 v4, v7, v4, vcc_lo
	v_cndmask_b32_e32 v3, v6, v12, vcc_lo
.LBB0_4:                                ;   in Loop: Header=BB0_2 Depth=1
	s_andn2_saveexec_b32 s0, s1
	s_cbranch_execz .LBB0_6
; %bb.5:                                ;   in Loop: Header=BB0_2 Depth=1
	v_cvt_f32_u32_e32 v3, s24
	s_sub_i32 s1, 0, s24
	v_rcp_iflag_f32_e32 v3, v3
	v_mul_f32_e32 v3, 0x4f7ffffe, v3
	v_cvt_u32_f32_e32 v3, v3
	v_mul_lo_u32 v4, s1, v3
	v_mul_hi_u32 v4, v3, v4
	v_add_nc_u32_e32 v3, v3, v4
	v_mul_hi_u32 v3, v10, v3
	v_mul_lo_u32 v4, v3, s24
	v_add_nc_u32_e32 v6, 1, v3
	v_sub_nc_u32_e32 v4, v10, v4
	v_subrev_nc_u32_e32 v7, s24, v4
	v_cmp_le_u32_e32 vcc_lo, s24, v4
	v_cndmask_b32_e32 v4, v4, v7, vcc_lo
	v_cndmask_b32_e32 v3, v3, v6, vcc_lo
	v_cmp_le_u32_e32 vcc_lo, s24, v4
	v_add_nc_u32_e32 v6, 1, v3
	v_mov_b32_e32 v4, v5
	v_cndmask_b32_e32 v3, v3, v6, vcc_lo
.LBB0_6:                                ;   in Loop: Header=BB0_2 Depth=1
	s_or_b32 exec_lo, exec_lo, s0
	v_mul_lo_u32 v12, v4, s24
	v_mul_lo_u32 v13, v3, s25
	s_load_dwordx2 s[0:1], s[6:7], 0x0
	v_mad_u64_u32 v[6:7], null, v3, s24, 0
	s_load_dwordx2 s[24:25], s[2:3], 0x0
	s_add_u32 s22, s22, 1
	s_addc_u32 s23, s23, 0
	s_add_u32 s2, s2, 8
	s_addc_u32 s3, s3, 0
	s_add_u32 s6, s6, 8
	v_add3_u32 v7, v7, v13, v12
	v_sub_co_u32 v6, vcc_lo, v10, v6
	s_addc_u32 s7, s7, 0
	s_add_u32 s20, s20, 8
	v_sub_co_ci_u32_e32 v7, vcc_lo, v11, v7, vcc_lo
	s_addc_u32 s21, s21, 0
	s_waitcnt lgkmcnt(0)
	v_mul_lo_u32 v10, s0, v7
	v_mul_lo_u32 v11, s1, v6
	v_mad_u64_u32 v[8:9], null, s0, v6, v[8:9]
	v_mul_lo_u32 v7, s24, v7
	v_mul_lo_u32 v12, s25, v6
	v_mad_u64_u32 v[1:2], null, s24, v6, v[1:2]
	v_cmp_ge_u64_e64 s0, s[22:23], s[14:15]
	v_add3_u32 v9, v11, v9, v10
	v_add3_u32 v2, v12, v2, v7
	s_and_b32 vcc_lo, exec_lo, s0
	s_cbranch_vccnz .LBB0_9
; %bb.7:                                ;   in Loop: Header=BB0_2 Depth=1
	v_mov_b32_e32 v11, v4
	v_mov_b32_e32 v10, v3
	s_branch .LBB0_2
.LBB0_8:
	v_mov_b32_e32 v1, v8
	v_mov_b32_e32 v3, v10
	;; [unrolled: 1-line block ×4, first 2 shown]
.LBB0_9:
	s_load_dwordx2 s[0:1], s[4:5], 0x28
	v_mul_hi_u32 v6, 0x4104105, v0
	s_lshl_b64 s[4:5], s[14:15], 3
                                        ; implicit-def: $vgpr5
                                        ; implicit-def: $vgpr7
	s_add_u32 s2, s18, s4
	s_addc_u32 s3, s19, s5
	s_waitcnt lgkmcnt(0)
	v_cmp_gt_u64_e32 vcc_lo, s[0:1], v[3:4]
	v_cmp_le_u64_e64 s0, s[0:1], v[3:4]
	s_and_saveexec_b32 s1, s0
	s_xor_b32 s0, exec_lo, s1
; %bb.10:
	v_mul_u32_u24_e32 v5, 63, v6
                                        ; implicit-def: $vgpr6
                                        ; implicit-def: $vgpr8_vgpr9
	v_sub_nc_u32_e32 v5, v0, v5
                                        ; implicit-def: $vgpr0
	v_add_nc_u32_e32 v7, 63, v5
; %bb.11:
	s_andn2_saveexec_b32 s1, s0
	s_cbranch_execz .LBB0_13
; %bb.12:
	s_add_u32 s4, s16, s4
	s_addc_u32 s5, s17, s5
	v_lshlrev_b64 v[8:9], 2, v[8:9]
	s_load_dwordx2 s[4:5], s[4:5], 0x0
	s_waitcnt lgkmcnt(0)
	v_mul_lo_u32 v5, s5, v3
	v_mul_lo_u32 v7, s4, v4
	v_mad_u64_u32 v[10:11], null, s4, v3, 0
	v_add3_u32 v11, v11, v7, v5
	v_mul_u32_u24_e32 v5, 63, v6
	v_lshlrev_b64 v[6:7], 2, v[10:11]
	v_sub_nc_u32_e32 v5, v0, v5
	v_lshlrev_b32_e32 v10, 2, v5
	v_add_co_u32 v0, s0, s8, v6
	v_add_co_ci_u32_e64 v6, s0, s9, v7, s0
	v_add_co_u32 v0, s0, v0, v8
	v_add_co_ci_u32_e64 v7, s0, v6, v9, s0
	;; [unrolled: 2-line block ×3, first 2 shown]
	s_clause 0x7
	global_load_dword v0, v[6:7], off
	global_load_dword v8, v[6:7], off offset:252
	global_load_dword v9, v[6:7], off offset:504
	;; [unrolled: 1-line block ×7, first 2 shown]
	v_add_nc_u32_e32 v10, 0, v10
	v_add_nc_u32_e32 v7, 63, v5
	;; [unrolled: 1-line block ×4, first 2 shown]
	s_waitcnt vmcnt(6)
	ds_write2_b32 v10, v0, v8 offset1:63
	s_waitcnt vmcnt(4)
	ds_write2_b32 v10, v9, v11 offset0:126 offset1:189
	s_waitcnt vmcnt(2)
	ds_write2_b32 v15, v12, v13 offset0:124 offset1:187
	;; [unrolled: 2-line block ×3, first 2 shown]
.LBB0_13:
	s_or_b32 exec_lo, exec_lo, s1
	v_lshl_add_u32 v0, v5, 2, 0
	s_load_dwordx2 s[2:3], s[2:3], 0x0
	s_waitcnt lgkmcnt(0)
	s_barrier
	buffer_gl0_inv
	v_add_nc_u32_e32 v6, 0x200, v0
	v_add_nc_u32_e32 v14, 0x400, v0
	v_mad_u32_u24 v23, v5, 24, v0
	ds_read2_b32 v[8:9], v0 offset0:72 offset1:135
	ds_read2_b32 v[10:11], v0 offset0:144 offset1:207
	;; [unrolled: 1-line block ×6, first 2 shown]
	ds_read2_b32 v[33:34], v0 offset1:63
	s_mov_b32 s1, exec_lo
	s_waitcnt lgkmcnt(0)
	s_barrier
	buffer_gl0_inv
	v_pk_add_f16 v15, v9, v17
	v_pk_add_f16 v20, v11, v30
	;; [unrolled: 1-line block ×3, first 2 shown]
	v_pk_add_f16 v19, v9, v17 neg_lo:[0,1] neg_hi:[0,1]
	v_pk_add_f16 v21, v11, v30 neg_lo:[0,1] neg_hi:[0,1]
	;; [unrolled: 1-line block ×3, first 2 shown]
	v_pk_add_f16 v11, v20, v15
	v_bfi_b32 v13, 0xffff, v6, v15
	v_bfi_b32 v17, 0xffff, v20, v6
	;; [unrolled: 1-line block ×3, first 2 shown]
	v_alignbit_b32 v26, v19, v9, 16
	v_alignbit_b32 v28, v9, v21, 16
	v_bfi_b32 v24, 0xffff, v6, v20
	v_pk_add_f16 v25, v9, v21
	v_alignbit_b32 v30, v9, v19, 16
	v_alignbit_b32 v9, v21, v9, 16
	v_pk_add_f16 v6, v6, v11
	v_pk_add_f16 v13, v13, v17 neg_lo:[0,1] neg_hi:[0,1]
	v_pk_add_f16 v17, v26, v28 neg_lo:[0,1] neg_hi:[0,1]
	;; [unrolled: 1-line block ×4, first 2 shown]
	v_pk_add_f16 v9, v25, v19
	v_pk_add_f16 v11, v34, v6
	v_pk_mul_f16 v25, 0x3a522b26, v13
	v_pk_mul_f16 v26, 0x3574b846, v17
	v_pk_add_f16 v14, v8, v16
	v_pk_add_f16 v18, v10, v29
	v_pk_mul_f16 v22, 0x370e, v9 op_sel_hi:[0,1]
	v_pk_fma_f16 v24, 0x3cab, v6, v11 op_sel_hi:[0,1,1] neg_lo:[0,1,0] neg_hi:[0,1,0]
	v_pk_fma_f16 v6, 0x2b263a52, v27, v25
	v_pk_fma_f16 v9, 0xb8463574, v28, v26
	v_pk_add_f16 v35, v12, v31
	v_pk_add_f16 v13, v18, v14
	v_pk_add_f16 v10, v10, v29 neg_lo:[0,1] neg_hi:[0,1]
	v_pk_add_f16 v17, v31, v12 neg_lo:[0,1] neg_hi:[0,1]
	v_pk_add_f16 v12, v6, v24
	v_pk_add_f16 v9, v22, v9 op_sel:[1,0] op_sel_hi:[0,1]
	v_pk_add_f16 v16, v8, v16 neg_lo:[0,1] neg_hi:[0,1]
	v_pk_add_f16 v13, v35, v13
	v_pk_add_f16 v29, v17, v10
	;; [unrolled: 1-line block ×3, first 2 shown]
	v_pk_add_f16 v12, v12, v9 neg_lo:[0,1] neg_hi:[0,1]
	v_pk_add_f16 v9, v14, v35 neg_lo:[0,1] neg_hi:[0,1]
	;; [unrolled: 1-line block ×4, first 2 shown]
	v_pk_add_f16 v8, v33, v13
	v_pk_add_f16 v31, v16, v17 neg_lo:[0,1] neg_hi:[0,1]
	v_pk_add_f16 v16, v29, v16
	v_pk_mul_f16 v9, 0x3a52, v9 op_sel_hi:[0,1]
	v_pk_mul_f16 v14, 0x39e0, v14 op_sel_hi:[0,1]
	;; [unrolled: 1-line block ×3, first 2 shown]
	v_pk_add_f16 v18, v35, v18 neg_lo:[0,1] neg_hi:[0,1]
	v_pk_add_f16 v10, v17, v10 neg_lo:[0,1] neg_hi:[0,1]
	v_pk_fma_f16 v13, 0x3cab, v13, v8 op_sel_hi:[0,1,1] neg_lo:[0,1,0] neg_hi:[0,1,0]
	v_pk_add_f16 v17, v9, v14 op_sel:[1,1] op_sel_hi:[0,0] neg_lo:[1,1] neg_hi:[1,1]
	v_pk_fma_f16 v30, 0x3574, v31, v29 op_sel_hi:[0,1,1] neg_lo:[0,1,1] neg_hi:[0,1,1]
	v_pk_fma_f16 v14, 0x2b26, v18, v14 op_sel_hi:[0,1,1] neg_lo:[0,1,0] neg_hi:[0,1,0]
	;; [unrolled: 1-line block ×3, first 2 shown]
	v_pk_mul_f16 v31, 0x3574, v31 op_sel_hi:[0,1]
	v_pk_add_f16 v32, v17, v13 op_sel:[0,1] op_sel_hi:[1,0]
	v_pk_fma_f16 v30, 0x370e, v16, v30 op_sel_hi:[0,1,1]
	v_pk_add_f16 v14, v14, v13
	v_pk_fma_f16 v29, 0x370e, v16, v29 op_sel_hi:[0,1,1]
	v_pk_fma_f16 v9, 0x2b26, v18, v9 op_sel_hi:[0,1,1]
	;; [unrolled: 1-line block ×3, first 2 shown]
	v_pk_add_f16 v17, v32, v30
	v_perm_b32 v18, v32, v14, 0x7060302
	v_bfi_b32 v31, 0xffff, v29, v30
	v_pk_add_f16 v33, v9, v13
	v_pk_fma_f16 v10, 0x370e, v16, v10 op_sel_hi:[0,1,1]
	v_pk_add_f16 v16, v32, v30 neg_lo:[0,1] neg_hi:[0,1]
	v_pk_add_f16 v13, v14, v29 op_sel:[0,1] op_sel_hi:[1,0] neg_lo:[0,1] neg_hi:[0,1]
	v_pk_add_f16 v14, v14, v29 op_sel:[0,1] op_sel_hi:[1,0]
	v_pk_add_f16 v18, v18, v31 neg_lo:[0,1] neg_hi:[0,1]
	v_pk_add_f16 v9, v33, v10 op_sel:[0,1] op_sel_hi:[1,0]
	v_pk_add_f16 v10, v33, v10 op_sel:[0,1] op_sel_hi:[1,0] neg_lo:[0,1] neg_hi:[0,1]
	v_alignbit_b32 v29, v16, v17, 16
	v_bfi_b32 v30, 0xffff, v13, v14
	v_alignbit_b32 v31, v17, v18, 16
	v_pack_b32_f16 v32, v14, v18
	v_bfi_b32 v33, 0xffff, v9, v10
	v_bfi_b32 v34, 0xffff, v10, v9
	ds_write2_b32 v23, v29, v30 offset0:2 offset1:3
	ds_write2_b32 v23, v32, v31 offset0:4 offset1:5
	ds_write2_b32 v23, v8, v33 offset1:1
	ds_write_b32 v23, v34 offset:24
	v_cmpx_gt_u32_e32 9, v5
	s_cbranch_execz .LBB0_15
; %bb.14:
	v_pk_mul_f16 v27, 0x2b263a52, v27
	v_pk_mul_f16 v28, 0xb8463574, v28
	v_pk_add_f16 v15, v20, v15 neg_lo:[0,1] neg_hi:[0,1]
	v_pk_add_f16 v19, v21, v19 neg_lo:[0,1] neg_hi:[0,1]
	v_bfi_b32 v20, 0xffff, v27, v25
	v_alignbit_b32 v21, v28, v26, 16
	v_alignbit_b32 v26, v26, v28, 16
	v_bfi_b32 v25, 0xffff, v25, v27
	v_pk_fma_f16 v20, 0x39e0, v15, v20 op_sel_hi:[0,1,1] neg_lo:[0,1,1] neg_hi:[0,1,1]
	v_pk_fma_f16 v21, 0x3b00, v19, v21 op_sel_hi:[0,1,1] neg_lo:[0,1,1] neg_hi:[0,1,1]
	;; [unrolled: 1-line block ×4, first 2 shown]
	v_pk_add_f16 v20, v20, v24
	v_pk_add_f16 v21, v22, v21
	v_pk_add_f16 v19, v22, v19
	v_pk_add_f16 v15, v15, v24
	v_mad_i32_i24 v24, v7, 28, 0
	v_pk_add_f16 v22, v20, v21 op_sel:[0,1] op_sel_hi:[1,0]
	v_pk_add_f16 v20, v20, v21 op_sel:[0,1] op_sel_hi:[1,0] neg_lo:[0,1] neg_hi:[0,1]
	v_pk_add_f16 v21, v15, v19 op_sel:[0,1] op_sel_hi:[1,0] neg_lo:[0,1] neg_hi:[0,1]
	v_pk_add_f16 v15, v15, v19 op_sel:[0,1] op_sel_hi:[1,0]
	v_bfi_b32 v19, 0xffff, v6, v12
	v_bfi_b32 v25, 0xffff, v22, v20
	v_bfi_b32 v20, 0xffff, v20, v22
	v_bfi_b32 v26, 0xffff, v21, v15
	v_bfi_b32 v15, 0xffff, v15, v21
	v_bfi_b32 v21, 0xffff, v12, v6
	ds_write2_b32 v24, v11, v19 offset1:1
	ds_write2_b32 v24, v25, v26 offset0:2 offset1:3
	ds_write2_b32 v24, v15, v20 offset0:4 offset1:5
	ds_write_b32 v24, v21 offset:24
.LBB0_15:
	s_or_b32 exec_lo, exec_lo, s1
	v_lshrrev_b32_e32 v19, 16, v10
	v_cmp_gt_u32_e64 s0, 56, v5
	v_lshrrev_b32_e32 v20, 16, v12
	v_lshrrev_b32_e32 v12, 16, v17
	v_lshrrev_b32_e32 v21, 16, v14
	v_lshrrev_b32_e32 v15, 16, v18
	v_lshrrev_b32_e32 v22, 16, v9
	s_waitcnt lgkmcnt(0)
	s_barrier
	buffer_gl0_inv
	s_and_saveexec_b32 s1, s0
	s_cbranch_execz .LBB0_17
; %bb.16:
	v_mad_i32_i24 v6, 0xffffffe8, v5, v23
	v_add_nc_u32_e32 v10, 0x200, v0
	v_add_nc_u32_e32 v11, 0x400, v0
	ds_read2_b32 v[8:9], v0 offset1:56
	ds_read2_b32 v[12:13], v0 offset0:112 offset1:168
	ds_read_b32 v6, v6 offset:1792
	ds_read2_b32 v[14:15], v10 offset0:96 offset1:152
	ds_read2_b32 v[10:11], v11 offset0:80 offset1:136
	s_waitcnt lgkmcnt(3)
	v_lshrrev_b32_e32 v16, 16, v12
	v_lshrrev_b32_e32 v21, 16, v13
	;; [unrolled: 1-line block ×3, first 2 shown]
	s_waitcnt lgkmcnt(2)
	v_lshrrev_b32_e32 v20, 16, v6
	s_waitcnt lgkmcnt(1)
	v_lshrrev_b32_e32 v18, 16, v14
	v_lshrrev_b32_e32 v17, 16, v15
	s_waitcnt lgkmcnt(0)
	v_lshrrev_b32_e32 v22, 16, v10
.LBB0_17:
	s_or_b32 exec_lo, exec_lo, s1
	s_barrier
	buffer_gl0_inv
	s_and_saveexec_b32 s1, s0
	s_cbranch_execz .LBB0_19
; %bb.18:
	v_and_b32_e32 v23, 0xff, v5
	v_bfrev_b32_e32 v33, 0.5
	v_mov_b32_e32 v34, 2
	v_mul_lo_u16 v23, v23, 37
	v_lshrrev_b16 v23, 8, v23
	v_sub_nc_u16 v24, v5, v23
	v_lshrrev_b16 v24, 1, v24
	v_and_b32_e32 v24, 0x7f, v24
	v_add_nc_u16 v23, v24, v23
	v_mov_b32_e32 v24, 5
	v_lshrrev_b16 v31, 2, v23
	v_mul_lo_u16 v23, v31, 7
	v_mul_u32_u24_sdwa v31, v31, v33 dst_sel:DWORD dst_unused:UNUSED_PAD src0_sel:WORD_0 src1_sel:DWORD
	v_lshrrev_b32_e32 v33, 16, v11
	v_sub_nc_u16 v32, v5, v23
	v_lshlrev_b32_sdwa v27, v24, v32 dst_sel:DWORD dst_unused:UNUSED_PAD src0_sel:DWORD src1_sel:BYTE_0
	v_lshlrev_b32_sdwa v32, v34, v32 dst_sel:DWORD dst_unused:UNUSED_PAD src0_sel:DWORD src1_sel:BYTE_0
	v_lshrrev_b32_e32 v34, 16, v8
	s_clause 0x1
	global_load_dwordx4 v[23:26], v27, s[12:13]
	global_load_dwordx4 v[27:30], v27, s[12:13] offset:16
	v_add3_u32 v31, 0, v31, v32
	s_waitcnt vmcnt(1)
	v_mul_f16_sdwa v32, v9, v23 dst_sel:DWORD dst_unused:UNUSED_PAD src0_sel:DWORD src1_sel:WORD_1
	s_waitcnt vmcnt(0)
	v_mul_f16_sdwa v35, v6, v30 dst_sel:DWORD dst_unused:UNUSED_PAD src0_sel:DWORD src1_sel:WORD_1
	v_mul_f16_sdwa v38, v12, v24 dst_sel:DWORD dst_unused:UNUSED_PAD src0_sel:DWORD src1_sel:WORD_1
	;; [unrolled: 1-line block ×15, first 2 shown]
	v_fmac_f16_e32 v32, v19, v23
	v_fmac_f16_e32 v35, v20, v30
	;; [unrolled: 1-line block ×4, first 2 shown]
	v_fma_f16 v15, v15, v27, -v42
	v_fma_f16 v14, v14, v26, -v43
	;; [unrolled: 1-line block ×8, first 2 shown]
	v_fmac_f16_e32 v36, v21, v25
	v_fmac_f16_e32 v37, v22, v28
	v_add_f16_e32 v21, v12, v11
	v_add_f16_e32 v22, v13, v10
	;; [unrolled: 1-line block ×3, first 2 shown]
	v_sub_f16_e32 v6, v9, v6
	v_sub_f16_e32 v9, v13, v10
	;; [unrolled: 1-line block ×4, first 2 shown]
	v_add_f16_e32 v13, v38, v39
	v_add_f16_e32 v25, v32, v35
	v_sub_f16_e32 v16, v32, v35
	v_add_f16_e32 v24, v36, v37
	v_mul_f16_e32 v28, 0x3be1, v11
	v_add_f16_e32 v32, v21, v23
	v_add_f16_e32 v30, v13, v25
	v_fmac_f16_e32 v40, v18, v26
	v_fmac_f16_e32 v41, v17, v27
	v_mul_f16_e32 v43, 0xb924, v11
	v_mul_f16_e32 v45, 0x3924, v6
	v_fma_f16 v28, v10, 0xb924, -v28
	v_add_f16_e32 v46, v24, v30
	v_add_f16_e32 v47, v22, v32
	v_sub_f16_e32 v19, v40, v41
	v_add_f16_e32 v20, v14, v15
	v_add_f16_e32 v12, v40, v41
	v_fmac_f16_e32 v43, 0x3be1, v6
	v_fmac_f16_e32 v45, 0x3be1, v10
	;; [unrolled: 1-line block ×3, first 2 shown]
	v_add_f16_e32 v40, v40, v46
	v_add_f16_e32 v14, v14, v47
	v_sub_f16_e32 v17, v36, v37
	v_add_f16_e32 v37, v11, v6
	v_fmac_f16_e32 v43, 0xbaee, v9
	v_fmac_f16_e32 v45, 0x3aee, v9
	;; [unrolled: 1-line block ×3, first 2 shown]
	v_add_f16_e32 v6, v41, v40
	v_add_f16_e32 v9, v15, v14
	v_sub_f16_e32 v18, v38, v39
	v_mul_f16_e32 v26, 0x3be1, v19
	v_fmamk_f16 v27, v21, 0x3a21, v8
	v_fmamk_f16 v29, v13, 0x3a21, v34
	v_mul_f16_e32 v38, 0xb924, v19
	v_fmamk_f16 v39, v20, 0x3a21, v8
	v_fmamk_f16 v42, v12, 0x3a21, v34
	v_add_f16_e32 v35, v8, v22
	v_add_f16_e32 v36, v34, v24
	v_mul_f16_e32 v44, 0x3924, v16
	v_add_f16_e32 v6, v34, v6
	v_add_f16_e32 v9, v8, v9
	v_fmac_f16_e32 v8, 0x3a21, v23
	v_fmac_f16_e32 v34, 0x3a21, v25
	v_fma_f16 v26, v18, 0xb924, -v26
	v_fmac_f16_e32 v27, 0x318f, v20
	v_fmac_f16_e32 v29, 0x318f, v12
	;; [unrolled: 1-line block ×9, first 2 shown]
	v_fmac_f16_e32 v27, -0.5, v22
	v_fmac_f16_e32 v29, -0.5, v24
	v_add_f16_e32 v33, v19, v16
	v_add_f16_e32 v32, v20, v32
	;; [unrolled: 1-line block ×3, first 2 shown]
	v_fmac_f16_e32 v38, 0xbaee, v17
	v_fmac_f16_e32 v39, -0.5, v22
	v_fmac_f16_e32 v42, -0.5, v24
	v_fmac_f16_e32 v44, 0x3aee, v17
	v_fmac_f16_e32 v8, -0.5, v22
	v_fmac_f16_e32 v34, -0.5, v24
	v_fmac_f16_e32 v26, 0x3579, v16
	v_fmac_f16_e32 v27, 0xbb84, v23
	;; [unrolled: 1-line block ×3, first 2 shown]
	v_sub_f16_e32 v33, v33, v18
	v_sub_f16_e32 v37, v37, v10
	v_fmac_f16_e32 v35, -0.5, v32
	v_fmac_f16_e32 v36, -0.5, v30
	v_fmac_f16_e32 v38, 0x3579, v18
	v_fmac_f16_e32 v39, 0xbb84, v21
	;; [unrolled: 1-line block ×8, first 2 shown]
	v_add_f16_e32 v10, v26, v27
	v_sub_f16_e32 v11, v29, v28
	v_mul_f16_e32 v46, 0x3aee, v33
	v_mul_f16_e32 v30, 0x3aee, v37
	v_fmac_f16_e32 v35, 0x3aee, v33
	v_fmac_f16_e32 v36, 0xbaee, v37
	v_add_f16_e32 v15, v38, v39
	v_sub_f16_e32 v16, v42, v43
	v_add_f16_e32 v8, v44, v8
	v_sub_f16_e32 v19, v34, v45
	v_fma_f16 v12, -2.0, v26, v10
	v_fma_f16 v17, 2.0, v28, v11
	v_fma_f16 v13, -2.0, v46, v35
	v_fma_f16 v14, 2.0, v30, v36
	;; [unrolled: 2-line block ×3, first 2 shown]
	v_pack_b32_f16 v6, v9, v6
	v_pack_b32_f16 v9, v15, v16
	v_fma_f16 v15, -2.0, v44, v8
	v_fma_f16 v16, 2.0, v45, v19
	v_pack_b32_f16 v8, v8, v19
	v_pack_b32_f16 v19, v35, v36
	;; [unrolled: 1-line block ×7, first 2 shown]
	ds_write2_b32 v31, v6, v8 offset1:7
	ds_write2_b32 v31, v9, v19 offset0:14 offset1:21
	ds_write2_b32 v31, v10, v11 offset0:28 offset1:35
	;; [unrolled: 1-line block ×3, first 2 shown]
	ds_write_b32 v31, v14 offset:224
.LBB0_19:
	s_or_b32 exec_lo, exec_lo, s1
	v_mul_u32_u24_e32 v6, 3, v5
	s_waitcnt lgkmcnt(0)
	s_barrier
	buffer_gl0_inv
	v_add_nc_u32_e32 v23, 0x400, v0
	v_lshlrev_b32_e32 v6, 2, v6
	ds_read2_b32 v[11:12], v0 offset1:126
	ds_read2_b32 v[17:18], v0 offset0:189 offset1:252
	v_lshl_add_u32 v13, v7, 2, 0
	ds_read2_b32 v[19:20], v23 offset0:59 offset1:122
	global_load_dwordx3 v[14:16], v6, s[12:13] offset:224
	v_mov_b32_e32 v6, 0
	v_add_nc_u32_e32 v25, 0x200, v0
	ds_read_b32 v24, v13
	ds_read_u16 v26, v0 offset:1766
	ds_read_b32 v27, v0 offset:1764
	s_waitcnt vmcnt(0) lgkmcnt(0)
	v_mov_b32_e32 v8, v6
	v_lshlrev_b64 v[9:10], 2, v[5:6]
	s_barrier
	buffer_gl0_inv
	v_lshlrev_b64 v[21:22], 2, v[7:8]
	v_add_co_u32 v6, s0, s12, v9
	v_add_co_ci_u32_e64 v7, s0, s13, v10, s0
	v_lshrrev_b32_e32 v8, 16, v12
	v_lshrrev_b32_e32 v28, 16, v18
	;; [unrolled: 1-line block ×7, first 2 shown]
	v_mul_f16_sdwa v34, v14, v8 dst_sel:DWORD dst_unused:UNUSED_PAD src0_sel:WORD_1 src1_sel:DWORD
	v_mul_f16_sdwa v35, v14, v12 dst_sel:DWORD dst_unused:UNUSED_PAD src0_sel:WORD_1 src1_sel:DWORD
	;; [unrolled: 1-line block ×10, first 2 shown]
	v_mul_f16_sdwa v44, v26, v16 dst_sel:DWORD dst_unused:UNUSED_PAD src0_sel:DWORD src1_sel:WORD_1
	v_mul_f16_sdwa v45, v16, v27 dst_sel:DWORD dst_unused:UNUSED_PAD src0_sel:WORD_1 src1_sel:DWORD
	v_fma_f16 v12, v14, v12, -v34
	v_fmac_f16_e32 v35, v14, v8
	v_fma_f16 v8, v15, v18, -v36
	v_fmac_f16_e32 v37, v15, v28
	;; [unrolled: 2-line block ×6, first 2 shown]
	v_sub_f16_e32 v8, v11, v8
	v_sub_f16_e32 v16, v30, v37
	;; [unrolled: 1-line block ×8, first 2 shown]
	v_fma_f16 v11, v11, 2.0, -v8
	v_fma_f16 v27, v30, 2.0, -v16
	;; [unrolled: 1-line block ×8, first 2 shown]
	v_sub_f16_e32 v19, v8, v19
	v_add_f16_e32 v18, v16, v18
	v_sub_f16_e32 v12, v11, v12
	v_sub_f16_e32 v28, v27, v28
	;; [unrolled: 1-line block ×3, first 2 shown]
	v_add_f16_e32 v15, v20, v15
	v_sub_f16_e32 v17, v24, v17
	v_sub_f16_e32 v30, v29, v30
	v_fma_f16 v8, v8, 2.0, -v19
	v_fma_f16 v16, v16, 2.0, -v18
	v_pack_b32_f16 v18, v19, v18
	v_fma_f16 v11, v11, 2.0, -v12
	v_fma_f16 v19, v27, 2.0, -v28
	;; [unrolled: 1-line block ×4, first 2 shown]
	v_pack_b32_f16 v15, v26, v15
	v_fma_f16 v24, v24, 2.0, -v17
	v_fma_f16 v26, v29, 2.0, -v30
	v_pack_b32_f16 v8, v8, v16
	v_pack_b32_f16 v16, v12, v28
	v_pack_b32_f16 v17, v17, v30
	v_pack_b32_f16 v19, v11, v19
	v_add_co_u32 v11, s0, s12, v21
	v_pack_b32_f16 v14, v14, v20
	v_pack_b32_f16 v20, v24, v26
	v_add_co_ci_u32_e64 v12, s0, s13, v22, s0
	ds_write2_b32 v0, v16, v18 offset0:126 offset1:189
	ds_write2_b32 v23, v17, v15 offset0:122 offset1:185
	ds_write2_b32 v0, v19, v8 offset1:63
	ds_write2_b32 v25, v20, v14 offset0:124 offset1:187
	s_waitcnt lgkmcnt(0)
	s_barrier
	buffer_gl0_inv
	s_clause 0x3
	global_load_dword v8, v[6:7], off offset:980
	global_load_dword v20, v[6:7], off offset:1484
	;; [unrolled: 1-line block ×4, first 2 shown]
	ds_read2_b32 v[14:15], v0 offset0:189 offset1:252
	ds_read2_b32 v[16:17], v23 offset0:59 offset1:122
	ds_read_b32 v24, v0 offset:1764
	ds_read2_b32 v[18:19], v0 offset1:126
	ds_read_b32 v26, v13
	s_waitcnt vmcnt(0) lgkmcnt(0)
	s_barrier
	buffer_gl0_inv
	v_cmp_ne_u32_e64 s0, 0, v5
	v_pk_mul_f16 v25, v8, v15 op_sel:[0,1]
	v_pk_mul_f16 v27, v20, v17 op_sel:[0,1]
	;; [unrolled: 1-line block ×4, first 2 shown]
	v_pk_fma_f16 v30, v8, v15, v25 op_sel:[0,0,1] op_sel_hi:[1,1,0] neg_lo:[0,0,1] neg_hi:[0,0,1]
	v_pk_fma_f16 v8, v8, v15, v25 op_sel:[0,0,1] op_sel_hi:[1,0,0]
	v_pk_fma_f16 v15, v20, v17, v27 op_sel:[0,0,1] op_sel_hi:[1,1,0] neg_lo:[0,0,1] neg_hi:[0,0,1]
	v_pk_fma_f16 v25, v22, v16, v29 op_sel:[0,0,1] op_sel_hi:[1,1,0] neg_lo:[0,0,1] neg_hi:[0,0,1]
	v_pk_fma_f16 v16, v22, v16, v29 op_sel:[0,0,1] op_sel_hi:[1,0,0]
	v_pk_fma_f16 v17, v20, v17, v27 op_sel:[0,0,1] op_sel_hi:[1,0,0]
	v_pk_fma_f16 v20, v21, v24, v28 op_sel:[0,0,1] op_sel_hi:[1,1,0] neg_lo:[0,0,1] neg_hi:[0,0,1]
	v_pk_fma_f16 v21, v21, v24, v28 op_sel:[0,0,1] op_sel_hi:[1,0,0]
	v_bfi_b32 v8, 0xffff, v30, v8
	v_bfi_b32 v16, 0xffff, v25, v16
	;; [unrolled: 1-line block ×4, first 2 shown]
	v_pk_add_f16 v8, v18, v8 neg_lo:[0,1] neg_hi:[0,1]
	v_pk_add_f16 v16, v26, v16 neg_lo:[0,1] neg_hi:[0,1]
	;; [unrolled: 1-line block ×4, first 2 shown]
	v_pk_fma_f16 v18, v18, 2.0, v8 op_sel_hi:[1,0,1] neg_lo:[0,0,1] neg_hi:[0,0,1]
	v_pk_fma_f16 v20, v26, 2.0, v16 op_sel_hi:[1,0,1] neg_lo:[0,0,1] neg_hi:[0,0,1]
	;; [unrolled: 1-line block ×4, first 2 shown]
	ds_write_b32 v0, v8 offset:1008
	ds_write_b32 v0, v18
	ds_write2_b32 v13, v20, v16 offset1:252
	ds_write2_b32 v0, v19, v14 offset0:126 offset1:189
	ds_write2_b32 v23, v15, v17 offset0:122 offset1:185
	s_waitcnt lgkmcnt(0)
	s_barrier
	buffer_gl0_inv
	ds_read_b32 v17, v0
	v_lshlrev_b32_e32 v8, 2, v5
                                        ; implicit-def: $vgpr16
                                        ; implicit-def: $vgpr14
                                        ; implicit-def: $vgpr15
	v_sub_nc_u32_e32 v8, 0, v8
	s_and_saveexec_b32 s1, s0
	s_xor_b32 s0, exec_lo, s1
	s_cbranch_execz .LBB0_21
; %bb.20:
	global_load_dword v6, v[6:7], off offset:1988
	ds_read_b32 v7, v8 offset:2016
	s_waitcnt lgkmcnt(0)
	v_pk_add_f16 v14, v17, v7 neg_lo:[0,1] neg_hi:[0,1]
	v_pk_add_f16 v7, v7, v17
	v_bfi_b32 v15, 0xffff, v14, v7
	v_bfi_b32 v7, 0xffff, v7, v14
	v_pk_mul_f16 v15, v15, 0.5 op_sel_hi:[1,0]
	v_pk_mul_f16 v16, v7, 0.5 op_sel_hi:[1,0]
	s_waitcnt vmcnt(0)
	v_pk_mul_f16 v14, v6, v15 op_sel:[1,0]
	v_pk_mul_f16 v6, v6, v15 op_sel_hi:[0,1]
	v_pk_fma_f16 v7, v7, 0.5, v14 op_sel_hi:[1,0,1]
	v_sub_f16_e32 v15, v16, v14
	v_sub_f16_sdwa v18, v14, v16 dst_sel:DWORD dst_unused:UNUSED_PAD src0_sel:WORD_1 src1_sel:WORD_1
	v_pk_add_f16 v17, v7, v6 op_sel:[0,1] op_sel_hi:[1,0]
	v_pk_add_f16 v7, v7, v6 op_sel:[0,1] op_sel_hi:[1,0] neg_lo:[0,1] neg_hi:[0,1]
	v_sub_f16_sdwa v14, v15, v6 dst_sel:DWORD dst_unused:UNUSED_PAD src0_sel:DWORD src1_sel:WORD_1
	v_sub_f16_e32 v15, v18, v6
	v_bfi_b32 v16, 0xffff, v17, v7
                                        ; implicit-def: $vgpr17
.LBB0_21:
	s_andn2_saveexec_b32 s0, s0
	s_cbranch_execz .LBB0_23
; %bb.22:
	v_mov_b32_e32 v15, 0
	s_waitcnt lgkmcnt(0)
	v_alignbit_b32 v7, s0, v17, 16
	v_sub_f16_sdwa v14, v17, v17 dst_sel:DWORD dst_unused:UNUSED_PAD src0_sel:DWORD src1_sel:WORD_1
	ds_read_u16 v6, v15 offset:1010
	v_pk_add_f16 v7, v7, v17
	v_pack_b32_f16 v16, v7, 0
	s_waitcnt lgkmcnt(0)
	v_xor_b32_e32 v6, 0x8000, v6
	ds_write_b16 v15, v6 offset:1010
.LBB0_23:
	s_or_b32 exec_lo, exec_lo, s0
	global_load_dword v11, v[11:12], off offset:1988
	s_add_u32 s0, s12, 0x7c4
	s_addc_u32 s1, s13, 0
	v_add_co_u32 v6, s0, s0, v9
	v_add_co_ci_u32_e64 v7, s0, s1, v10, s0
	s_clause 0x1
	global_load_dword v9, v[6:7], off offset:504
	global_load_dword v6, v[6:7], off offset:756
	ds_write_b16 v8, v15 offset:2018
	ds_write_b32 v0, v16
	ds_write_b16 v8, v14 offset:2016
	ds_read_b32 v7, v13
	ds_read_b32 v10, v8 offset:1764
	s_waitcnt lgkmcnt(0)
	v_pk_add_f16 v12, v7, v10 neg_lo:[0,1] neg_hi:[0,1]
	v_pk_add_f16 v7, v7, v10
	v_bfi_b32 v10, 0xffff, v12, v7
	v_bfi_b32 v7, 0xffff, v7, v12
	v_pk_mul_f16 v10, v10, 0.5 op_sel_hi:[1,0]
	v_pk_mul_f16 v7, v7, 0.5 op_sel_hi:[1,0]
	s_waitcnt vmcnt(2)
	v_pk_fma_f16 v12, v11, v10, v7 op_sel:[1,0,0]
	v_pk_mul_f16 v14, v11, v10 op_sel_hi:[0,1]
	v_pk_fma_f16 v15, v11, v10, v7 op_sel:[1,0,0] neg_lo:[1,0,0] neg_hi:[1,0,0]
	v_pk_fma_f16 v7, v11, v10, v7 op_sel:[1,0,0] neg_lo:[0,0,1] neg_hi:[0,0,1]
	v_pk_add_f16 v10, v12, v14 op_sel:[0,1] op_sel_hi:[1,0]
	v_pk_add_f16 v11, v12, v14 op_sel:[0,1] op_sel_hi:[1,0] neg_lo:[0,1] neg_hi:[0,1]
	v_pk_add_f16 v12, v15, v14 op_sel:[0,1] op_sel_hi:[1,0] neg_lo:[0,1] neg_hi:[0,1]
	;; [unrolled: 1-line block ×3, first 2 shown]
	v_bfi_b32 v10, 0xffff, v10, v11
	v_bfi_b32 v7, 0xffff, v12, v7
	ds_write_b32 v13, v10
	ds_write_b32 v8, v7 offset:1764
	ds_read_b32 v7, v0 offset:504
	ds_read_b32 v10, v8 offset:1512
	s_waitcnt lgkmcnt(0)
	v_pk_add_f16 v11, v7, v10 neg_lo:[0,1] neg_hi:[0,1]
	v_pk_add_f16 v7, v7, v10
	v_bfi_b32 v10, 0xffff, v11, v7
	v_bfi_b32 v7, 0xffff, v7, v11
	v_pk_mul_f16 v10, v10, 0.5 op_sel_hi:[1,0]
	v_pk_mul_f16 v12, v7, 0.5 op_sel_hi:[1,0]
	s_waitcnt vmcnt(1)
	v_pk_mul_f16 v11, v9, v10 op_sel:[1,0]
	v_pk_mul_f16 v9, v9, v10 op_sel_hi:[0,1]
	v_pk_fma_f16 v7, v7, 0.5, v11 op_sel_hi:[1,0,1]
	v_sub_f16_sdwa v10, v11, v12 dst_sel:DWORD dst_unused:UNUSED_PAD src0_sel:WORD_1 src1_sel:WORD_1
	v_sub_f16_e32 v11, v12, v11
	v_pk_add_f16 v13, v7, v9 op_sel:[0,1] op_sel_hi:[1,0]
	v_pk_add_f16 v7, v7, v9 op_sel:[0,1] op_sel_hi:[1,0] neg_lo:[0,1] neg_hi:[0,1]
	v_sub_f16_e32 v10, v10, v9
	v_sub_f16_sdwa v9, v11, v9 dst_sel:DWORD dst_unused:UNUSED_PAD src0_sel:DWORD src1_sel:WORD_1
	v_bfi_b32 v7, 0xffff, v13, v7
	ds_write_b16 v8, v10 offset:1514
	ds_write_b32 v0, v7 offset:504
	ds_write_b16 v8, v9 offset:1512
	ds_read_b32 v7, v0 offset:756
	ds_read_b32 v9, v8 offset:1260
	s_waitcnt lgkmcnt(0)
	v_pk_add_f16 v10, v7, v9 neg_lo:[0,1] neg_hi:[0,1]
	v_pk_add_f16 v7, v7, v9
	v_bfi_b32 v9, 0xffff, v10, v7
	v_bfi_b32 v7, 0xffff, v7, v10
	v_pk_mul_f16 v9, v9, 0.5 op_sel_hi:[1,0]
	v_pk_mul_f16 v7, v7, 0.5 op_sel_hi:[1,0]
	s_waitcnt vmcnt(0)
	v_pk_mul_f16 v11, v6, v9 op_sel_hi:[0,1]
	v_pk_fma_f16 v10, v6, v9, v7 op_sel:[1,0,0]
	v_pk_fma_f16 v12, v6, v9, v7 op_sel:[1,0,0] neg_lo:[1,0,0] neg_hi:[1,0,0]
	v_pk_fma_f16 v6, v6, v9, v7 op_sel:[1,0,0] neg_lo:[0,0,1] neg_hi:[0,0,1]
	v_pk_add_f16 v7, v10, v11 op_sel:[0,1] op_sel_hi:[1,0]
	v_pk_add_f16 v9, v10, v11 op_sel:[0,1] op_sel_hi:[1,0] neg_lo:[0,1] neg_hi:[0,1]
	v_pk_add_f16 v10, v12, v11 op_sel:[0,1] op_sel_hi:[1,0] neg_lo:[0,1] neg_hi:[0,1]
	;; [unrolled: 1-line block ×3, first 2 shown]
	v_bfi_b32 v7, 0xffff, v7, v9
	v_bfi_b32 v6, 0xffff, v10, v6
	ds_write_b32 v0, v7 offset:756
	ds_write_b32 v8, v6 offset:1260
	s_waitcnt lgkmcnt(0)
	s_barrier
	buffer_gl0_inv
	s_and_saveexec_b32 s0, vcc_lo
	s_cbranch_execz .LBB0_26
; %bb.24:
	v_mul_lo_u32 v0, s3, v3
	v_mul_lo_u32 v6, s2, v4
	v_mad_u64_u32 v[3:4], null, s2, v3, 0
	v_lshl_add_u32 v17, v5, 2, 0
	v_add_nc_u32_e32 v7, 0x7e, v5
	v_add_nc_u32_e32 v9, 0xbd, v5
	ds_read2_b32 v[11:12], v17 offset1:63
	v_add3_u32 v4, v4, v6, v0
	v_mov_b32_e32 v6, 0
	v_lshlrev_b64 v[0:1], 2, v[1:2]
	v_add_nc_u32_e32 v2, 63, v5
	ds_read2_b32 v[15:16], v17 offset0:126 offset1:189
	v_lshlrev_b64 v[3:4], 2, v[3:4]
	v_lshlrev_b64 v[13:14], 2, v[5:6]
	v_mov_b32_e32 v10, v6
	v_add_co_u32 v8, vcc_lo, s10, v3
	v_add_co_ci_u32_e32 v4, vcc_lo, s11, v4, vcc_lo
	v_mov_b32_e32 v3, v6
	v_add_co_u32 v0, vcc_lo, v8, v0
	v_mov_b32_e32 v8, v6
	v_add_co_ci_u32_e32 v1, vcc_lo, v4, v1, vcc_lo
	v_lshlrev_b64 v[2:3], 2, v[2:3]
	v_add_co_u32 v13, vcc_lo, v0, v13
	v_lshlrev_b64 v[7:8], 2, v[7:8]
	v_add_co_ci_u32_e32 v14, vcc_lo, v1, v14, vcc_lo
	v_add_co_u32 v2, vcc_lo, v0, v2
	v_lshlrev_b64 v[9:10], 2, v[9:10]
	v_add_co_ci_u32_e32 v3, vcc_lo, v1, v3, vcc_lo
	v_add_co_u32 v7, vcc_lo, v0, v7
	v_add_co_ci_u32_e32 v8, vcc_lo, v1, v8, vcc_lo
	v_add_co_u32 v9, vcc_lo, v0, v9
	s_waitcnt lgkmcnt(1)
	global_store_dword v[13:14], v11, off
	v_add_co_ci_u32_e32 v10, vcc_lo, v1, v10, vcc_lo
	v_add_nc_u32_e32 v13, 0xfc, v5
	v_add_nc_u32_e32 v4, 0x200, v17
	v_mov_b32_e32 v14, v6
	global_store_dword v[2:3], v12, off
	s_waitcnt lgkmcnt(0)
	global_store_dword v[7:8], v15, off
	global_store_dword v[9:10], v16, off
	v_add_nc_u32_e32 v9, 0x13b, v5
	v_mov_b32_e32 v10, v6
	ds_read2_b32 v[2:3], v4 offset0:124 offset1:187
	v_lshlrev_b64 v[7:8], 2, v[13:14]
	v_add_nc_u32_e32 v4, 0x400, v17
	v_add_nc_u32_e32 v11, 0x17a, v5
	v_mov_b32_e32 v12, v6
	v_lshlrev_b64 v[9:10], 2, v[9:10]
	v_add_nc_u32_e32 v15, 0x1b9, v5
	v_mov_b32_e32 v16, v6
	ds_read2_b32 v[13:14], v4 offset0:122 offset1:185
	v_add_co_u32 v7, vcc_lo, v0, v7
	v_lshlrev_b64 v[11:12], 2, v[11:12]
	v_add_co_ci_u32_e32 v8, vcc_lo, v1, v8, vcc_lo
	v_add_co_u32 v9, vcc_lo, v0, v9
	v_lshlrev_b64 v[15:16], 2, v[15:16]
	v_add_co_ci_u32_e32 v10, vcc_lo, v1, v10, vcc_lo
	v_add_co_u32 v11, vcc_lo, v0, v11
	v_add_co_ci_u32_e32 v12, vcc_lo, v1, v12, vcc_lo
	v_add_co_u32 v15, vcc_lo, v0, v15
	v_add_co_ci_u32_e32 v16, vcc_lo, v1, v16, vcc_lo
	v_cmp_eq_u32_e32 vcc_lo, 62, v5
	s_waitcnt lgkmcnt(1)
	global_store_dword v[7:8], v2, off
	global_store_dword v[9:10], v3, off
	s_waitcnt lgkmcnt(0)
	global_store_dword v[11:12], v13, off
	global_store_dword v[15:16], v14, off
	s_and_b32 exec_lo, exec_lo, vcc_lo
	s_cbranch_execz .LBB0_26
; %bb.25:
	ds_read_b32 v2, v6 offset:2016
	s_waitcnt lgkmcnt(0)
	global_store_dword v[0:1], v2, off offset:2016
.LBB0_26:
	s_endpgm
	.section	.rodata,"a",@progbits
	.p2align	6, 0x0
	.amdhsa_kernel fft_rtc_fwd_len504_factors_7_9_4_2_wgs_63_tpt_63_half_op_CI_CI_unitstride_sbrr_R2C_dirReg
		.amdhsa_group_segment_fixed_size 0
		.amdhsa_private_segment_fixed_size 0
		.amdhsa_kernarg_size 104
		.amdhsa_user_sgpr_count 6
		.amdhsa_user_sgpr_private_segment_buffer 1
		.amdhsa_user_sgpr_dispatch_ptr 0
		.amdhsa_user_sgpr_queue_ptr 0
		.amdhsa_user_sgpr_kernarg_segment_ptr 1
		.amdhsa_user_sgpr_dispatch_id 0
		.amdhsa_user_sgpr_flat_scratch_init 0
		.amdhsa_user_sgpr_private_segment_size 0
		.amdhsa_wavefront_size32 1
		.amdhsa_uses_dynamic_stack 0
		.amdhsa_system_sgpr_private_segment_wavefront_offset 0
		.amdhsa_system_sgpr_workgroup_id_x 1
		.amdhsa_system_sgpr_workgroup_id_y 0
		.amdhsa_system_sgpr_workgroup_id_z 0
		.amdhsa_system_sgpr_workgroup_info 0
		.amdhsa_system_vgpr_workitem_id 0
		.amdhsa_next_free_vgpr 50
		.amdhsa_next_free_sgpr 27
		.amdhsa_reserve_vcc 1
		.amdhsa_reserve_flat_scratch 0
		.amdhsa_float_round_mode_32 0
		.amdhsa_float_round_mode_16_64 0
		.amdhsa_float_denorm_mode_32 3
		.amdhsa_float_denorm_mode_16_64 3
		.amdhsa_dx10_clamp 1
		.amdhsa_ieee_mode 1
		.amdhsa_fp16_overflow 0
		.amdhsa_workgroup_processor_mode 1
		.amdhsa_memory_ordered 1
		.amdhsa_forward_progress 0
		.amdhsa_shared_vgpr_count 0
		.amdhsa_exception_fp_ieee_invalid_op 0
		.amdhsa_exception_fp_denorm_src 0
		.amdhsa_exception_fp_ieee_div_zero 0
		.amdhsa_exception_fp_ieee_overflow 0
		.amdhsa_exception_fp_ieee_underflow 0
		.amdhsa_exception_fp_ieee_inexact 0
		.amdhsa_exception_int_div_zero 0
	.end_amdhsa_kernel
	.text
.Lfunc_end0:
	.size	fft_rtc_fwd_len504_factors_7_9_4_2_wgs_63_tpt_63_half_op_CI_CI_unitstride_sbrr_R2C_dirReg, .Lfunc_end0-fft_rtc_fwd_len504_factors_7_9_4_2_wgs_63_tpt_63_half_op_CI_CI_unitstride_sbrr_R2C_dirReg
                                        ; -- End function
	.section	.AMDGPU.csdata,"",@progbits
; Kernel info:
; codeLenInByte = 6476
; NumSgprs: 29
; NumVgprs: 50
; ScratchSize: 0
; MemoryBound: 0
; FloatMode: 240
; IeeeMode: 1
; LDSByteSize: 0 bytes/workgroup (compile time only)
; SGPRBlocks: 3
; VGPRBlocks: 6
; NumSGPRsForWavesPerEU: 29
; NumVGPRsForWavesPerEU: 50
; Occupancy: 16
; WaveLimiterHint : 1
; COMPUTE_PGM_RSRC2:SCRATCH_EN: 0
; COMPUTE_PGM_RSRC2:USER_SGPR: 6
; COMPUTE_PGM_RSRC2:TRAP_HANDLER: 0
; COMPUTE_PGM_RSRC2:TGID_X_EN: 1
; COMPUTE_PGM_RSRC2:TGID_Y_EN: 0
; COMPUTE_PGM_RSRC2:TGID_Z_EN: 0
; COMPUTE_PGM_RSRC2:TIDIG_COMP_CNT: 0
	.text
	.p2alignl 6, 3214868480
	.fill 48, 4, 3214868480
	.type	__hip_cuid_3b3d08cf10f6e1ac,@object ; @__hip_cuid_3b3d08cf10f6e1ac
	.section	.bss,"aw",@nobits
	.globl	__hip_cuid_3b3d08cf10f6e1ac
__hip_cuid_3b3d08cf10f6e1ac:
	.byte	0                               ; 0x0
	.size	__hip_cuid_3b3d08cf10f6e1ac, 1

	.ident	"AMD clang version 19.0.0git (https://github.com/RadeonOpenCompute/llvm-project roc-6.4.0 25133 c7fe45cf4b819c5991fe208aaa96edf142730f1d)"
	.section	".note.GNU-stack","",@progbits
	.addrsig
	.addrsig_sym __hip_cuid_3b3d08cf10f6e1ac
	.amdgpu_metadata
---
amdhsa.kernels:
  - .args:
      - .actual_access:  read_only
        .address_space:  global
        .offset:         0
        .size:           8
        .value_kind:     global_buffer
      - .offset:         8
        .size:           8
        .value_kind:     by_value
      - .actual_access:  read_only
        .address_space:  global
        .offset:         16
        .size:           8
        .value_kind:     global_buffer
      - .actual_access:  read_only
        .address_space:  global
        .offset:         24
        .size:           8
        .value_kind:     global_buffer
      - .actual_access:  read_only
        .address_space:  global
        .offset:         32
        .size:           8
        .value_kind:     global_buffer
      - .offset:         40
        .size:           8
        .value_kind:     by_value
      - .actual_access:  read_only
        .address_space:  global
        .offset:         48
        .size:           8
        .value_kind:     global_buffer
      - .actual_access:  read_only
        .address_space:  global
        .offset:         56
        .size:           8
        .value_kind:     global_buffer
      - .offset:         64
        .size:           4
        .value_kind:     by_value
      - .actual_access:  read_only
        .address_space:  global
        .offset:         72
        .size:           8
        .value_kind:     global_buffer
      - .actual_access:  read_only
        .address_space:  global
        .offset:         80
        .size:           8
        .value_kind:     global_buffer
      - .actual_access:  read_only
        .address_space:  global
        .offset:         88
        .size:           8
        .value_kind:     global_buffer
      - .actual_access:  write_only
        .address_space:  global
        .offset:         96
        .size:           8
        .value_kind:     global_buffer
    .group_segment_fixed_size: 0
    .kernarg_segment_align: 8
    .kernarg_segment_size: 104
    .language:       OpenCL C
    .language_version:
      - 2
      - 0
    .max_flat_workgroup_size: 63
    .name:           fft_rtc_fwd_len504_factors_7_9_4_2_wgs_63_tpt_63_half_op_CI_CI_unitstride_sbrr_R2C_dirReg
    .private_segment_fixed_size: 0
    .sgpr_count:     29
    .sgpr_spill_count: 0
    .symbol:         fft_rtc_fwd_len504_factors_7_9_4_2_wgs_63_tpt_63_half_op_CI_CI_unitstride_sbrr_R2C_dirReg.kd
    .uniform_work_group_size: 1
    .uses_dynamic_stack: false
    .vgpr_count:     50
    .vgpr_spill_count: 0
    .wavefront_size: 32
    .workgroup_processor_mode: 1
amdhsa.target:   amdgcn-amd-amdhsa--gfx1030
amdhsa.version:
  - 1
  - 2
...

	.end_amdgpu_metadata
